;; amdgpu-corpus repo=ROCm/rocFFT kind=compiled arch=gfx1201 opt=O3
	.text
	.amdgcn_target "amdgcn-amd-amdhsa--gfx1201"
	.amdhsa_code_object_version 6
	.protected	fft_rtc_back_len960_factors_16_10_6_wgs_160_tpt_160_sp_op_CI_CI_sbrr_dirReg ; -- Begin function fft_rtc_back_len960_factors_16_10_6_wgs_160_tpt_160_sp_op_CI_CI_sbrr_dirReg
	.globl	fft_rtc_back_len960_factors_16_10_6_wgs_160_tpt_160_sp_op_CI_CI_sbrr_dirReg
	.p2align	8
	.type	fft_rtc_back_len960_factors_16_10_6_wgs_160_tpt_160_sp_op_CI_CI_sbrr_dirReg,@function
fft_rtc_back_len960_factors_16_10_6_wgs_160_tpt_160_sp_op_CI_CI_sbrr_dirReg: ; @fft_rtc_back_len960_factors_16_10_6_wgs_160_tpt_160_sp_op_CI_CI_sbrr_dirReg
; %bb.0:
	s_clause 0x2
	s_load_b128 s[12:15], s[0:1], 0x18
	s_load_b128 s[8:11], s[0:1], 0x0
	;; [unrolled: 1-line block ×3, first 2 shown]
	v_mul_u32_u24_e32 v1, 0x19a, v0
	v_mov_b32_e32 v3, 0
	s_wait_kmcnt 0x0
	s_load_b64 s[18:19], s[12:13], 0x0
	s_load_b64 s[16:17], s[14:15], 0x0
	v_lshrrev_b32_e32 v1, 16, v1
	v_cmp_lt_u64_e64 s2, s[10:11], 2
	s_delay_alu instid0(VALU_DEP_2)
	v_add_nc_u32_e32 v5, ttmp9, v1
	v_mov_b32_e32 v1, 0
	v_mov_b32_e32 v2, 0
	;; [unrolled: 1-line block ×3, first 2 shown]
	s_and_b32 vcc_lo, exec_lo, s2
	s_cbranch_vccnz .LBB0_8
; %bb.1:
	s_load_b64 s[2:3], s[0:1], 0x10
	v_mov_b32_e32 v1, 0
	v_mov_b32_e32 v2, 0
	s_add_nc_u64 s[20:21], s[14:15], 8
	s_add_nc_u64 s[22:23], s[12:13], 8
	s_mov_b64 s[24:25], 1
	s_delay_alu instid0(VALU_DEP_1)
	v_dual_mov_b32 v21, v2 :: v_dual_mov_b32 v20, v1
	s_wait_kmcnt 0x0
	s_add_nc_u64 s[26:27], s[2:3], 8
	s_mov_b32 s3, 0
.LBB0_2:                                ; =>This Inner Loop Header: Depth=1
	s_load_b64 s[28:29], s[26:27], 0x0
                                        ; implicit-def: $vgpr22_vgpr23
	s_mov_b32 s2, exec_lo
	s_wait_kmcnt 0x0
	v_or_b32_e32 v4, s29, v6
	s_delay_alu instid0(VALU_DEP_1)
	v_cmpx_ne_u64_e32 0, v[3:4]
	s_wait_alu 0xfffe
	s_xor_b32 s30, exec_lo, s2
	s_cbranch_execz .LBB0_4
; %bb.3:                                ;   in Loop: Header=BB0_2 Depth=1
	s_cvt_f32_u32 s2, s28
	s_cvt_f32_u32 s31, s29
	s_sub_nc_u64 s[36:37], 0, s[28:29]
	s_wait_alu 0xfffe
	s_delay_alu instid0(SALU_CYCLE_1) | instskip(SKIP_1) | instid1(SALU_CYCLE_2)
	s_fmamk_f32 s2, s31, 0x4f800000, s2
	s_wait_alu 0xfffe
	v_s_rcp_f32 s2, s2
	s_delay_alu instid0(TRANS32_DEP_1) | instskip(SKIP_1) | instid1(SALU_CYCLE_2)
	s_mul_f32 s2, s2, 0x5f7ffffc
	s_wait_alu 0xfffe
	s_mul_f32 s31, s2, 0x2f800000
	s_wait_alu 0xfffe
	s_delay_alu instid0(SALU_CYCLE_2) | instskip(SKIP_1) | instid1(SALU_CYCLE_2)
	s_trunc_f32 s31, s31
	s_wait_alu 0xfffe
	s_fmamk_f32 s2, s31, 0xcf800000, s2
	s_cvt_u32_f32 s35, s31
	s_wait_alu 0xfffe
	s_delay_alu instid0(SALU_CYCLE_1) | instskip(SKIP_1) | instid1(SALU_CYCLE_2)
	s_cvt_u32_f32 s34, s2
	s_wait_alu 0xfffe
	s_mul_u64 s[38:39], s[36:37], s[34:35]
	s_wait_alu 0xfffe
	s_mul_hi_u32 s41, s34, s39
	s_mul_i32 s40, s34, s39
	s_mul_hi_u32 s2, s34, s38
	s_mul_i32 s33, s35, s38
	s_wait_alu 0xfffe
	s_add_nc_u64 s[40:41], s[2:3], s[40:41]
	s_mul_hi_u32 s31, s35, s38
	s_mul_hi_u32 s42, s35, s39
	s_add_co_u32 s2, s40, s33
	s_wait_alu 0xfffe
	s_add_co_ci_u32 s2, s41, s31
	s_mul_i32 s38, s35, s39
	s_add_co_ci_u32 s39, s42, 0
	s_wait_alu 0xfffe
	s_add_nc_u64 s[38:39], s[2:3], s[38:39]
	s_wait_alu 0xfffe
	v_add_co_u32 v4, s2, s34, s38
	s_delay_alu instid0(VALU_DEP_1) | instskip(SKIP_1) | instid1(VALU_DEP_1)
	s_cmp_lg_u32 s2, 0
	s_add_co_ci_u32 s35, s35, s39
	v_readfirstlane_b32 s34, v4
	s_wait_alu 0xfffe
	s_delay_alu instid0(VALU_DEP_1)
	s_mul_u64 s[36:37], s[36:37], s[34:35]
	s_wait_alu 0xfffe
	s_mul_hi_u32 s39, s34, s37
	s_mul_i32 s38, s34, s37
	s_mul_hi_u32 s2, s34, s36
	s_mul_i32 s33, s35, s36
	s_wait_alu 0xfffe
	s_add_nc_u64 s[38:39], s[2:3], s[38:39]
	s_mul_hi_u32 s31, s35, s36
	s_mul_hi_u32 s34, s35, s37
	s_wait_alu 0xfffe
	s_add_co_u32 s2, s38, s33
	s_add_co_ci_u32 s2, s39, s31
	s_mul_i32 s36, s35, s37
	s_add_co_ci_u32 s37, s34, 0
	s_wait_alu 0xfffe
	s_add_nc_u64 s[36:37], s[2:3], s[36:37]
	s_wait_alu 0xfffe
	v_add_co_u32 v4, s2, v4, s36
	s_delay_alu instid0(VALU_DEP_1) | instskip(SKIP_1) | instid1(VALU_DEP_1)
	s_cmp_lg_u32 s2, 0
	s_add_co_ci_u32 s2, s35, s37
	v_mul_hi_u32 v13, v5, v4
	s_wait_alu 0xfffe
	v_mad_co_u64_u32 v[7:8], null, v5, s2, 0
	v_mad_co_u64_u32 v[9:10], null, v6, v4, 0
	;; [unrolled: 1-line block ×3, first 2 shown]
	s_delay_alu instid0(VALU_DEP_3) | instskip(SKIP_1) | instid1(VALU_DEP_4)
	v_add_co_u32 v4, vcc_lo, v13, v7
	s_wait_alu 0xfffd
	v_add_co_ci_u32_e32 v7, vcc_lo, 0, v8, vcc_lo
	s_delay_alu instid0(VALU_DEP_2) | instskip(SKIP_1) | instid1(VALU_DEP_2)
	v_add_co_u32 v4, vcc_lo, v4, v9
	s_wait_alu 0xfffd
	v_add_co_ci_u32_e32 v4, vcc_lo, v7, v10, vcc_lo
	s_wait_alu 0xfffd
	v_add_co_ci_u32_e32 v7, vcc_lo, 0, v12, vcc_lo
	s_delay_alu instid0(VALU_DEP_2) | instskip(SKIP_1) | instid1(VALU_DEP_2)
	v_add_co_u32 v4, vcc_lo, v4, v11
	s_wait_alu 0xfffd
	v_add_co_ci_u32_e32 v9, vcc_lo, 0, v7, vcc_lo
	s_delay_alu instid0(VALU_DEP_2) | instskip(SKIP_1) | instid1(VALU_DEP_3)
	v_mul_lo_u32 v10, s29, v4
	v_mad_co_u64_u32 v[7:8], null, s28, v4, 0
	v_mul_lo_u32 v11, s28, v9
	s_delay_alu instid0(VALU_DEP_2) | instskip(NEXT) | instid1(VALU_DEP_2)
	v_sub_co_u32 v7, vcc_lo, v5, v7
	v_add3_u32 v8, v8, v11, v10
	s_delay_alu instid0(VALU_DEP_1) | instskip(SKIP_1) | instid1(VALU_DEP_1)
	v_sub_nc_u32_e32 v10, v6, v8
	s_wait_alu 0xfffd
	v_subrev_co_ci_u32_e64 v10, s2, s29, v10, vcc_lo
	v_add_co_u32 v11, s2, v4, 2
	s_wait_alu 0xf1ff
	v_add_co_ci_u32_e64 v12, s2, 0, v9, s2
	v_sub_co_u32 v13, s2, v7, s28
	v_sub_co_ci_u32_e32 v8, vcc_lo, v6, v8, vcc_lo
	s_wait_alu 0xf1ff
	v_subrev_co_ci_u32_e64 v10, s2, 0, v10, s2
	s_delay_alu instid0(VALU_DEP_3) | instskip(NEXT) | instid1(VALU_DEP_3)
	v_cmp_le_u32_e32 vcc_lo, s28, v13
	v_cmp_eq_u32_e64 s2, s29, v8
	s_wait_alu 0xfffd
	v_cndmask_b32_e64 v13, 0, -1, vcc_lo
	v_cmp_le_u32_e32 vcc_lo, s29, v10
	s_wait_alu 0xfffd
	v_cndmask_b32_e64 v14, 0, -1, vcc_lo
	v_cmp_le_u32_e32 vcc_lo, s28, v7
	;; [unrolled: 3-line block ×3, first 2 shown]
	s_wait_alu 0xfffd
	v_cndmask_b32_e64 v15, 0, -1, vcc_lo
	v_cmp_eq_u32_e32 vcc_lo, s29, v10
	s_wait_alu 0xf1ff
	s_delay_alu instid0(VALU_DEP_2)
	v_cndmask_b32_e64 v7, v15, v7, s2
	s_wait_alu 0xfffd
	v_cndmask_b32_e32 v10, v14, v13, vcc_lo
	v_add_co_u32 v13, vcc_lo, v4, 1
	s_wait_alu 0xfffd
	v_add_co_ci_u32_e32 v14, vcc_lo, 0, v9, vcc_lo
	s_delay_alu instid0(VALU_DEP_3) | instskip(SKIP_1) | instid1(VALU_DEP_2)
	v_cmp_ne_u32_e32 vcc_lo, 0, v10
	s_wait_alu 0xfffd
	v_cndmask_b32_e32 v8, v14, v12, vcc_lo
	v_cndmask_b32_e32 v10, v13, v11, vcc_lo
	v_cmp_ne_u32_e32 vcc_lo, 0, v7
	s_wait_alu 0xfffd
	s_delay_alu instid0(VALU_DEP_2)
	v_dual_cndmask_b32 v23, v9, v8 :: v_dual_cndmask_b32 v22, v4, v10
.LBB0_4:                                ;   in Loop: Header=BB0_2 Depth=1
	s_wait_alu 0xfffe
	s_and_not1_saveexec_b32 s2, s30
	s_cbranch_execz .LBB0_6
; %bb.5:                                ;   in Loop: Header=BB0_2 Depth=1
	v_cvt_f32_u32_e32 v4, s28
	s_sub_co_i32 s30, 0, s28
	v_mov_b32_e32 v23, v3
	s_delay_alu instid0(VALU_DEP_2) | instskip(NEXT) | instid1(TRANS32_DEP_1)
	v_rcp_iflag_f32_e32 v4, v4
	v_mul_f32_e32 v4, 0x4f7ffffe, v4
	s_delay_alu instid0(VALU_DEP_1) | instskip(SKIP_1) | instid1(VALU_DEP_1)
	v_cvt_u32_f32_e32 v4, v4
	s_wait_alu 0xfffe
	v_mul_lo_u32 v7, s30, v4
	s_delay_alu instid0(VALU_DEP_1) | instskip(NEXT) | instid1(VALU_DEP_1)
	v_mul_hi_u32 v7, v4, v7
	v_add_nc_u32_e32 v4, v4, v7
	s_delay_alu instid0(VALU_DEP_1) | instskip(NEXT) | instid1(VALU_DEP_1)
	v_mul_hi_u32 v4, v5, v4
	v_mul_lo_u32 v7, v4, s28
	v_add_nc_u32_e32 v8, 1, v4
	s_delay_alu instid0(VALU_DEP_2) | instskip(NEXT) | instid1(VALU_DEP_1)
	v_sub_nc_u32_e32 v7, v5, v7
	v_subrev_nc_u32_e32 v9, s28, v7
	v_cmp_le_u32_e32 vcc_lo, s28, v7
	s_wait_alu 0xfffd
	s_delay_alu instid0(VALU_DEP_2) | instskip(NEXT) | instid1(VALU_DEP_1)
	v_dual_cndmask_b32 v7, v7, v9 :: v_dual_cndmask_b32 v4, v4, v8
	v_cmp_le_u32_e32 vcc_lo, s28, v7
	s_delay_alu instid0(VALU_DEP_2) | instskip(SKIP_1) | instid1(VALU_DEP_1)
	v_add_nc_u32_e32 v8, 1, v4
	s_wait_alu 0xfffd
	v_cndmask_b32_e32 v22, v4, v8, vcc_lo
.LBB0_6:                                ;   in Loop: Header=BB0_2 Depth=1
	s_wait_alu 0xfffe
	s_or_b32 exec_lo, exec_lo, s2
	v_mul_lo_u32 v4, v23, s28
	s_delay_alu instid0(VALU_DEP_2)
	v_mul_lo_u32 v9, v22, s29
	s_load_b64 s[30:31], s[22:23], 0x0
	v_mad_co_u64_u32 v[7:8], null, v22, s28, 0
	s_load_b64 s[28:29], s[20:21], 0x0
	s_add_nc_u64 s[24:25], s[24:25], 1
	s_add_nc_u64 s[20:21], s[20:21], 8
	s_wait_alu 0xfffe
	v_cmp_ge_u64_e64 s2, s[24:25], s[10:11]
	s_add_nc_u64 s[22:23], s[22:23], 8
	s_add_nc_u64 s[26:27], s[26:27], 8
	v_add3_u32 v4, v8, v9, v4
	v_sub_co_u32 v5, vcc_lo, v5, v7
	s_wait_alu 0xfffd
	s_delay_alu instid0(VALU_DEP_2) | instskip(SKIP_2) | instid1(VALU_DEP_1)
	v_sub_co_ci_u32_e32 v4, vcc_lo, v6, v4, vcc_lo
	s_and_b32 vcc_lo, exec_lo, s2
	s_wait_kmcnt 0x0
	v_mul_lo_u32 v6, s30, v4
	v_mul_lo_u32 v7, s31, v5
	v_mad_co_u64_u32 v[1:2], null, s30, v5, v[1:2]
	v_mul_lo_u32 v4, s28, v4
	v_mul_lo_u32 v8, s29, v5
	v_mad_co_u64_u32 v[20:21], null, s28, v5, v[20:21]
	s_delay_alu instid0(VALU_DEP_4) | instskip(NEXT) | instid1(VALU_DEP_2)
	v_add3_u32 v2, v7, v2, v6
	v_add3_u32 v21, v8, v21, v4
	s_wait_alu 0xfffe
	s_cbranch_vccnz .LBB0_9
; %bb.7:                                ;   in Loop: Header=BB0_2 Depth=1
	v_dual_mov_b32 v5, v22 :: v_dual_mov_b32 v6, v23
	s_branch .LBB0_2
.LBB0_8:
	s_delay_alu instid0(VALU_DEP_2) | instskip(NEXT) | instid1(VALU_DEP_2)
	v_dual_mov_b32 v21, v2 :: v_dual_mov_b32 v20, v1
	v_dual_mov_b32 v23, v6 :: v_dual_mov_b32 v22, v5
.LBB0_9:
	s_load_b64 s[0:1], s[0:1], 0x28
	v_mul_hi_u32 v3, 0x199999a, v0
                                        ; implicit-def: $vgpr36
	s_wait_kmcnt 0x0
	s_delay_alu instid0(VALU_DEP_2) | instskip(SKIP_1) | instid1(VALU_DEP_1)
	v_cmp_gt_u64_e32 vcc_lo, s[0:1], v[22:23]
	v_cmp_le_u64_e64 s0, s[0:1], v[22:23]
	s_and_saveexec_b32 s1, s0
	s_wait_alu 0xfffe
	s_xor_b32 s0, exec_lo, s1
; %bb.10:
	s_delay_alu instid0(VALU_DEP_3) | instskip(NEXT) | instid1(VALU_DEP_1)
	v_mul_u32_u24_e32 v1, 0xa0, v3
                                        ; implicit-def: $vgpr3
	v_sub_nc_u32_e32 v36, v0, v1
                                        ; implicit-def: $vgpr0
                                        ; implicit-def: $vgpr1_vgpr2
; %bb.11:
	s_wait_alu 0xfffe
	s_and_not1_saveexec_b32 s1, s0
	s_cbranch_execz .LBB0_13
; %bb.12:
	s_lshl_b64 s[2:3], s[10:11], 3
	v_mul_u32_u24_e32 v3, 0xa0, v3
	s_wait_alu 0xfffe
	s_add_nc_u64 s[2:3], s[12:13], s[2:3]
	s_load_b64 s[2:3], s[2:3], 0x0
	s_delay_alu instid0(VALU_DEP_1) | instskip(SKIP_1) | instid1(VALU_DEP_2)
	v_sub_nc_u32_e32 v36, v0, v3
	v_lshlrev_b64_e32 v[0:1], 3, v[1:2]
	v_add_nc_u32_e32 v26, 0x280, v36
	v_add_nc_u32_e32 v18, 0xa0, v36
	v_mad_co_u64_u32 v[2:3], null, s18, v36, 0
	v_add_nc_u32_e32 v27, 0x320, v36
	s_delay_alu instid0(VALU_DEP_4) | instskip(SKIP_2) | instid1(VALU_DEP_4)
	v_mad_co_u64_u32 v[12:13], null, s18, v26, 0
	v_add_nc_u32_e32 v19, 0x140, v36
	v_mad_co_u64_u32 v[4:5], null, s18, v18, 0
	v_mad_co_u64_u32 v[14:15], null, s18, v27, 0
	s_delay_alu instid0(VALU_DEP_3)
	v_mad_co_u64_u32 v[6:7], null, s18, v19, 0
	v_add_nc_u32_e32 v24, 0x1e0, v36
	s_wait_kmcnt 0x0
	v_mul_lo_u32 v25, s3, v22
	v_mul_lo_u32 v28, s2, v23
	v_mad_co_u64_u32 v[10:11], null, s2, v22, 0
	v_mad_co_u64_u32 v[16:17], null, s19, v36, v[3:4]
	v_mov_b32_e32 v3, v5
	v_mov_b32_e32 v5, v7
	v_mad_co_u64_u32 v[8:9], null, s18, v24, 0
	v_add3_u32 v11, v11, v28, v25
	s_delay_alu instid0(VALU_DEP_4) | instskip(SKIP_4) | instid1(VALU_DEP_4)
	v_mad_co_u64_u32 v[17:18], null, s19, v18, v[3:4]
	v_mov_b32_e32 v3, v16
	v_mad_co_u64_u32 v[18:19], null, s19, v19, v[5:6]
	v_mov_b32_e32 v7, v9
	v_lshlrev_b64_e32 v[9:10], 3, v[10:11]
	v_lshlrev_b64_e32 v[2:3], 3, v[2:3]
	s_delay_alu instid0(VALU_DEP_3) | instskip(NEXT) | instid1(VALU_DEP_3)
	v_mad_co_u64_u32 v[24:25], null, s19, v24, v[7:8]
	v_add_co_u32 v5, s0, s4, v9
	s_wait_alu 0xf1ff
	s_delay_alu instid0(VALU_DEP_4) | instskip(NEXT) | instid1(VALU_DEP_2)
	v_add_co_ci_u32_e64 v7, s0, s5, v10, s0
	v_add_co_u32 v19, s0, v5, v0
	s_wait_alu 0xf1ff
	s_delay_alu instid0(VALU_DEP_2) | instskip(SKIP_1) | instid1(VALU_DEP_3)
	v_add_co_ci_u32_e64 v25, s0, v7, v1, s0
	v_mov_b32_e32 v5, v17
	v_add_co_u32 v0, s0, v19, v2
	s_wait_alu 0xf1ff
	s_delay_alu instid0(VALU_DEP_3) | instskip(NEXT) | instid1(VALU_DEP_3)
	v_add_co_ci_u32_e64 v1, s0, v25, v3, s0
	v_lshlrev_b64_e32 v[3:4], 3, v[4:5]
	v_dual_mov_b32 v2, v13 :: v_dual_mov_b32 v7, v18
	v_mov_b32_e32 v9, v24
	s_delay_alu instid0(VALU_DEP_2)
	v_mad_co_u64_u32 v[10:11], null, s19, v26, v[2:3]
	v_mov_b32_e32 v2, v15
	v_add_co_u32 v3, s0, v19, v3
	v_lshlrev_b64_e32 v[5:6], 3, v[6:7]
	v_lshlrev_b64_e32 v[7:8], 3, v[8:9]
	s_wait_alu 0xf1ff
	v_add_co_ci_u32_e64 v4, s0, v25, v4, s0
	v_mad_co_u64_u32 v[15:16], null, s19, v27, v[2:3]
	v_mov_b32_e32 v13, v10
	v_add_co_u32 v5, s0, v19, v5
	s_wait_alu 0xf1ff
	v_add_co_ci_u32_e64 v6, s0, v25, v6, s0
	s_delay_alu instid0(VALU_DEP_3) | instskip(SKIP_4) | instid1(VALU_DEP_4)
	v_lshlrev_b64_e32 v[9:10], 3, v[12:13]
	v_add_co_u32 v7, s0, v19, v7
	v_lshlrev_b64_e32 v[11:12], 3, v[14:15]
	s_wait_alu 0xf1ff
	v_add_co_ci_u32_e64 v8, s0, v25, v8, s0
	v_add_co_u32 v9, s0, v19, v9
	s_wait_alu 0xf1ff
	v_add_co_ci_u32_e64 v10, s0, v25, v10, s0
	v_add_co_u32 v11, s0, v19, v11
	s_wait_alu 0xf1ff
	v_add_co_ci_u32_e64 v12, s0, v25, v12, s0
	s_clause 0x5
	global_load_b64 v[0:1], v[0:1], off
	global_load_b64 v[2:3], v[3:4], off
	;; [unrolled: 1-line block ×6, first 2 shown]
	v_lshl_add_u32 v12, v36, 3, 0
	s_delay_alu instid0(VALU_DEP_1)
	v_add_nc_u32_e32 v14, 0x1400, v12
	v_add_nc_u32_e32 v13, 0x800, v12
	s_wait_loadcnt 0x4
	ds_store_2addr_b64 v12, v[0:1], v[2:3] offset1:160
	s_wait_loadcnt 0x2
	ds_store_2addr_b64 v13, v[4:5], v[6:7] offset0:64 offset1:224
	s_wait_loadcnt 0x0
	ds_store_2addr_b64 v14, v[8:9], v[10:11] offset1:160
.LBB0_13:
	s_wait_alu 0xfffe
	s_or_b32 exec_lo, exec_lo, s1
	v_lshl_add_u32 v37, v36, 3, 0
	global_wb scope:SCOPE_SE
	s_wait_dscnt 0x0
	s_barrier_signal -1
	s_barrier_wait -1
	global_inv scope:SCOPE_SE
	v_add_nc_u32_e32 v8, 0xc00, v37
	ds_load_2addr_b64 v[0:3], v37 offset1:60
	v_add_nc_u32_e32 v12, 0x1400, v37
	v_add_nc_u32_e32 v28, 0x800, v37
	s_mov_b32 s1, exec_lo
	ds_load_2addr_b64 v[8:11], v8 offset0:96 offset1:156
	s_wait_dscnt 0x0
	v_dual_sub_f32 v11, v3, v11 :: v_dual_add_nc_u32 v4, 0x400, v37
	v_dual_sub_f32 v8, v0, v8 :: v_dual_sub_f32 v9, v1, v9
	ds_load_2addr_b64 v[4:7], v4 offset0:112 offset1:172
	v_fma_f32 v3, v3, 2.0, -v11
	v_add_nc_u32_e32 v24, 0x1000, v37
	v_fma_f32 v1, v1, 2.0, -v9
	v_sub_f32_e32 v10, v2, v10
	v_add_nc_u32_e32 v32, 0x1800, v37
	ds_load_2addr_b64 v[12:15], v12 offset0:80 offset1:140
	ds_load_2addr_b64 v[16:19], v37 offset0:120 offset1:180
	;; [unrolled: 1-line block ×5, first 2 shown]
	v_fma_f32 v0, v0, 2.0, -v8
	global_wb scope:SCOPE_SE
	s_wait_dscnt 0x0
	s_barrier_signal -1
	s_barrier_wait -1
	global_inv scope:SCOPE_SE
	v_dual_sub_f32 v12, v4, v12 :: v_dual_sub_f32 v13, v5, v13
	v_dual_sub_f32 v24, v16, v24 :: v_dual_sub_f32 v25, v17, v25
	v_dual_sub_f32 v32, v28, v32 :: v_dual_sub_f32 v33, v29, v33
	v_sub_f32_e32 v27, v19, v27
	v_sub_f32_e32 v35, v31, v35
	v_fma_f32 v4, v4, 2.0, -v12
	v_fma_f32 v17, v17, 2.0, -v25
	;; [unrolled: 1-line block ×3, first 2 shown]
	v_sub_f32_e32 v15, v7, v15
	v_fma_f32 v19, v19, 2.0, -v27
	v_fma_f32 v31, v31, 2.0, -v35
	;; [unrolled: 1-line block ×4, first 2 shown]
	v_dual_sub_f32 v14, v6, v14 :: v_dual_add_f32 v13, v8, v13
	v_dual_sub_f32 v26, v18, v26 :: v_dual_sub_f32 v29, v17, v29
	v_dual_sub_f32 v34, v30, v34 :: v_dual_add_f32 v33, v24, v33
	v_fma_f32 v7, v7, 2.0, -v15
	v_dual_sub_f32 v4, v0, v4 :: v_dual_sub_f32 v31, v19, v31
	s_delay_alu instid0(VALU_DEP_4) | instskip(NEXT) | instid1(VALU_DEP_2)
	v_dual_sub_f32 v12, v9, v12 :: v_dual_add_f32 v35, v26, v35
	v_dual_sub_f32 v32, v25, v32 :: v_dual_add_f32 v41, v4, v29
	v_fma_f32 v16, v16, 2.0, -v24
	v_fma_f32 v6, v6, 2.0, -v14
	;; [unrolled: 1-line block ×4, first 2 shown]
	v_sub_f32_e32 v5, v1, v5
	v_fma_f32 v2, v2, 2.0, -v10
	v_fma_f32 v8, v8, 2.0, -v13
	;; [unrolled: 1-line block ×4, first 2 shown]
	v_sub_f32_e32 v7, v3, v7
	v_fma_f32 v25, v25, 2.0, -v32
	v_fma_f32 v1, v1, 2.0, -v5
	v_sub_f32_e32 v6, v2, v6
	v_fma_f32 v17, v17, 2.0, -v29
	v_sub_f32_e32 v28, v16, v28
	v_fma_f32 v3, v3, 2.0, -v7
	v_dual_sub_f32 v30, v18, v30 :: v_dual_fmamk_f32 v43, v32, 0x3f3504f3, v12
	v_fma_f32 v19, v19, 2.0, -v31
	v_sub_f32_e32 v34, v27, v34
	v_dual_fmamk_f32 v38, v24, 0xbf3504f3, v8 :: v_dual_fmamk_f32 v39, v25, 0xbf3504f3, v9
	v_sub_f32_e32 v14, v11, v14
	v_fma_f32 v0, v0, 2.0, -v4
	v_sub_f32_e32 v17, v1, v17
	v_fma_f32 v16, v16, 2.0, -v28
	v_fmac_f32_e32 v39, 0xbf3504f3, v24
	v_fma_f32 v11, v11, 2.0, -v14
	v_fmac_f32_e32 v43, 0xbf3504f3, v33
	v_dual_sub_f32 v19, v3, v19 :: v_dual_fmac_f32 v38, 0x3f3504f3, v25
	v_add_f32_e32 v45, v6, v31
	v_fma_f32 v25, v27, 2.0, -v34
	v_add_f32_e32 v15, v10, v15
	v_fma_f32 v26, v26, 2.0, -v35
	v_sub_f32_e32 v16, v0, v16
	v_dual_fmamk_f32 v40, v33, 0x3f3504f3, v13 :: v_dual_fmamk_f32 v47, v34, 0x3f3504f3, v14
	v_fmamk_f32 v33, v25, 0xbf3504f3, v11
	v_sub_f32_e32 v42, v5, v28
	v_fma_f32 v10, v10, 2.0, -v15
	v_fma_f32 v2, v2, 2.0, -v6
	;; [unrolled: 1-line block ×3, first 2 shown]
	v_fmac_f32_e32 v33, 0xbf3504f3, v26
	v_fma_f32 v29, v5, 2.0, -v42
	v_sub_f32_e32 v46, v7, v30
	v_fma_f32 v1, v1, 2.0, -v17
	v_fma_f32 v9, v9, 2.0, -v39
	;; [unrolled: 1-line block ×3, first 2 shown]
	v_fmac_f32_e32 v40, 0x3f3504f3, v32
	v_dual_fmamk_f32 v32, v26, 0xbf3504f3, v10 :: v_dual_fmac_f32 v47, 0xbf3504f3, v35
	v_fma_f32 v11, v11, 2.0, -v33
	v_fma_f32 v30, v7, 2.0, -v46
	v_sub_f32_e32 v18, v2, v18
	v_fma_f32 v0, v0, 2.0, -v16
	v_fma_f32 v8, v8, 2.0, -v38
	v_fmamk_f32 v7, v11, 0xbf6c835e, v9
	v_fmac_f32_e32 v32, 0x3f3504f3, v25
	v_fmamk_f32 v25, v30, 0xbf3504f3, v29
	v_fmamk_f32 v44, v35, 0x3f3504f3, v15
	v_fma_f32 v28, v4, 2.0, -v41
	v_fma_f32 v12, v12, 2.0, -v43
	;; [unrolled: 1-line block ×4, first 2 shown]
	v_fmac_f32_e32 v44, 0x3f3504f3, v34
	v_fma_f32 v27, v6, 2.0, -v45
	v_sub_f32_e32 v5, v1, v3
	v_fma_f32 v3, v14, 2.0, -v47
	v_fma_f32 v13, v13, 2.0, -v40
	s_delay_alu instid0(VALU_DEP_4)
	v_dual_sub_f32 v4, v0, v2 :: v_dual_fmac_f32 v25, 0xbf3504f3, v27
	v_fma_f32 v15, v15, 2.0, -v44
	v_fmamk_f32 v24, v27, 0xbf3504f3, v28
	v_fmamk_f32 v27, v3, 0xbec3ef15, v12
	;; [unrolled: 1-line block ×3, first 2 shown]
	v_fmac_f32_e32 v7, 0xbec3ef15, v10
	v_fmamk_f32 v26, v15, 0xbec3ef15, v13
	v_fmac_f32_e32 v24, 0x3f3504f3, v30
	v_fmac_f32_e32 v27, 0xbf6c835e, v15
	v_dual_fmac_f32 v6, 0x3ec3ef15, v11 :: v_dual_fmamk_f32 v31, v33, 0x3ec3ef15, v39
	s_delay_alu instid0(VALU_DEP_4) | instskip(SKIP_1) | instid1(VALU_DEP_3)
	v_dual_fmac_f32 v26, 0x3f6c835e, v3 :: v_dual_fmamk_f32 v35, v47, 0x3f6c835e, v43
	v_fmamk_f32 v34, v44, 0x3f6c835e, v40
	v_fma_f32 v2, v8, 2.0, -v6
	v_fma_f32 v8, v28, 2.0, -v24
	v_add_f32_e32 v28, v16, v19
	v_fma_f32 v3, v9, 2.0, -v7
	v_fma_f32 v9, v29, 2.0, -v25
	v_dual_sub_f32 v29, v17, v18 :: v_dual_fmamk_f32 v30, v32, 0x3ec3ef15, v38
	v_fmac_f32_e32 v31, 0xbf6c835e, v32
	v_fmamk_f32 v32, v45, 0x3f3504f3, v41
	v_fmac_f32_e32 v34, 0x3ec3ef15, v47
	v_fmac_f32_e32 v35, 0xbec3ef15, v44
	;; [unrolled: 1-line block ×3, first 2 shown]
	v_fmamk_f32 v33, v46, 0x3f3504f3, v42
	v_fmac_f32_e32 v32, 0x3f3504f3, v46
	v_fma_f32 v0, v0, 2.0, -v4
	v_fma_f32 v1, v1, 2.0, -v5
	;; [unrolled: 1-line block ×3, first 2 shown]
	v_fmac_f32_e32 v33, 0xbf3504f3, v45
	v_fma_f32 v11, v12, 2.0, -v27
	v_fma_f32 v12, v16, 2.0, -v28
	;; [unrolled: 1-line block ×9, first 2 shown]
	v_cmpx_gt_u32_e32 60, v36
	s_cbranch_execz .LBB0_15
; %bb.14:
	v_mad_u32_u24 v38, 0x78, v36, v37
	ds_store_2addr_b64 v38, v[0:1], v[2:3] offset1:1
	ds_store_2addr_b64 v38, v[8:9], v[10:11] offset0:2 offset1:3
	ds_store_2addr_b64 v38, v[12:13], v[14:15] offset0:4 offset1:5
	;; [unrolled: 1-line block ×7, first 2 shown]
.LBB0_15:
	s_wait_alu 0xfffe
	s_or_b32 exec_lo, exec_lo, s1
	v_cmp_gt_u32_e64 s0, 0x60, v36
	s_lshl_b64 s[2:3], s[10:11], 3
	global_wb scope:SCOPE_SE
	s_wait_dscnt 0x0
	s_barrier_signal -1
	s_barrier_wait -1
	global_inv scope:SCOPE_SE
	s_and_saveexec_b32 s1, s0
	s_cbranch_execz .LBB0_17
; %bb.16:
	v_add_nc_u32_e32 v4, 0x400, v37
	v_add_nc_u32_e32 v5, 0x800, v37
	;; [unrolled: 1-line block ×4, first 2 shown]
	ds_load_2addr_b64 v[0:3], v37 offset1:96
	ds_load_2addr_b64 v[8:11], v4 offset0:64 offset1:160
	ds_load_2addr_b64 v[12:15], v5 offset0:128 offset1:224
	;; [unrolled: 1-line block ×3, first 2 shown]
	ds_load_2addr_b64 v[4:7], v7 offset1:96
.LBB0_17:
	s_wait_alu 0xfffe
	s_or_b32 exec_lo, exec_lo, s1
	s_add_nc_u64 s[2:3], s[14:15], s[2:3]
	global_wb scope:SCOPE_SE
	s_wait_dscnt 0x0
	s_barrier_signal -1
	s_barrier_wait -1
	global_inv scope:SCOPE_SE
	s_and_saveexec_b32 s1, s0
	s_cbranch_execz .LBB0_19
; %bb.18:
	v_and_b32_e32 v44, 15, v36
	v_lshrrev_b32_e32 v45, 4, v36
	s_delay_alu instid0(VALU_DEP_2) | instskip(NEXT) | instid1(VALU_DEP_2)
	v_mul_u32_u24_e32 v24, 9, v44
	v_mul_u32_u24_e32 v45, 0xa0, v45
	s_delay_alu instid0(VALU_DEP_2) | instskip(NEXT) | instid1(VALU_DEP_2)
	v_lshlrev_b32_e32 v42, 3, v24
	v_or_b32_e32 v44, v45, v44
	s_clause 0x4
	global_load_b128 v[24:27], v42, s[8:9]
	global_load_b128 v[28:31], v42, s[8:9] offset:16
	global_load_b128 v[32:35], v42, s[8:9] offset:48
	;; [unrolled: 1-line block ×3, first 2 shown]
	global_load_b64 v[42:43], v42, s[8:9] offset:64
	v_lshl_add_u32 v44, v44, 3, 0
	s_wait_loadcnt 0x4
	v_mul_f32_e32 v45, v8, v27
	s_wait_loadcnt 0x3
	v_mul_f32_e32 v46, v12, v31
	;; [unrolled: 2-line block ×3, first 2 shown]
	v_dual_mul_f32 v35, v5, v35 :: v_dual_mul_f32 v52, v19, v33
	s_wait_loadcnt 0x1
	v_mul_f32_e32 v50, v15, v39
	v_dual_mul_f32 v48, v16, v41 :: v_dual_mul_f32 v27, v9, v27
	v_mul_f32_e32 v41, v17, v41
	v_dual_mul_f32 v49, v11, v29 :: v_dual_fmac_f32 v52, v18, v32
	v_mul_f32_e32 v29, v10, v29
	v_dual_mul_f32 v31, v13, v31 :: v_dual_fmac_f32 v50, v14, v38
	v_fma_f32 v9, v9, v26, -v45
	v_fma_f32 v13, v13, v30, -v46
	s_wait_loadcnt 0x0
	v_mul_f32_e32 v51, v7, v43
	v_dual_fmac_f32 v31, v12, v30 :: v_dual_sub_f32 v30, v50, v52
	v_fmac_f32_e32 v41, v16, v40
	v_mul_f32_e32 v39, v14, v39
	v_fma_f32 v5, v5, v34, -v47
	v_fma_f32 v17, v17, v40, -v48
	v_mul_f32_e32 v43, v6, v43
	v_dual_fmac_f32 v27, v8, v26 :: v_dual_sub_f32 v8, v9, v13
	v_dual_fmac_f32 v51, v6, v42 :: v_dual_sub_f32 v14, v31, v41
	v_fma_f32 v6, v15, v38, -v39
	v_fmac_f32_e32 v35, v4, v34
	v_mul_f32_e32 v33, v18, v33
	v_dual_mul_f32 v53, v3, v25 :: v_dual_add_f32 v18, v50, v52
	v_dual_fmac_f32 v49, v10, v28 :: v_dual_sub_f32 v10, v5, v17
	v_fma_f32 v4, v7, v42, -v43
	v_sub_f32_e32 v12, v27, v35
	v_fma_f32 v7, v19, v32, -v33
	v_add_f32_e32 v34, v9, v5
	v_dual_mul_f32 v25, v2, v25 :: v_dual_sub_f32 v16, v51, v52
	v_sub_f32_e32 v32, v13, v9
	s_delay_alu instid0(VALU_DEP_4)
	v_dual_sub_f32 v26, v4, v7 :: v_dual_fmac_f32 v53, v2, v24
	v_add_f32_e32 v40, v49, v51
	v_fma_f32 v2, v11, v28, -v29
	v_fma_f32 v3, v3, v24, -v25
	v_add_f32_e32 v11, v13, v17
	v_dual_sub_f32 v15, v49, v50 :: v_dual_sub_f32 v38, v50, v49
	s_delay_alu instid0(VALU_DEP_4)
	v_dual_sub_f32 v19, v2, v4 :: v_dual_add_f32 v46, v1, v9
	v_sub_f32_e32 v24, v6, v7
	v_add_f32_e32 v28, v6, v7
	v_dual_sub_f32 v25, v2, v6 :: v_dual_sub_f32 v48, v35, v41
	v_sub_f32_e32 v29, v49, v51
	v_dual_sub_f32 v33, v17, v5 :: v_dual_sub_f32 v56, v31, v27
	v_dual_sub_f32 v39, v52, v51 :: v_dual_add_f32 v54, v31, v41
	v_sub_f32_e32 v42, v6, v2
	v_dual_add_f32 v45, v2, v4 :: v_dual_add_f32 v58, v27, v35
	v_add_f32_e32 v2, v3, v2
	v_dual_sub_f32 v43, v7, v4 :: v_dual_add_f32 v8, v8, v10
	v_sub_f32_e32 v47, v27, v31
	v_sub_f32_e32 v9, v9, v5
	s_delay_alu instid0(VALU_DEP_4)
	v_dual_sub_f32 v55, v13, v17 :: v_dual_add_f32 v2, v2, v6
	v_fma_f32 v10, -0.5, v11, v1
	v_add_f32_e32 v11, v15, v16
	v_fma_f32 v15, -0.5, v18, v53
	v_add_f32_e32 v16, v25, v26
	v_dual_sub_f32 v57, v41, v35 :: v_dual_add_f32 v6, v47, v48
	v_fma_f32 v18, -0.5, v28, v3
	v_add_f32_e32 v27, v0, v27
	v_fma_f32 v26, -0.5, v34, v1
	v_add_f32_e32 v25, v32, v33
	v_fma_f32 v33, -0.5, v45, v3
	v_add_f32_e32 v3, v46, v13
	v_fma_f32 v34, -0.5, v54, v0
	v_fma_f32 v28, -0.5, v40, v53
	v_add_f32_e32 v1, v38, v39
	v_dual_add_f32 v32, v42, v43 :: v_dual_add_f32 v13, v56, v57
	v_add_f32_e32 v2, v2, v7
	v_fma_f32 v38, -0.5, v58, v0
	v_dual_fmamk_f32 v39, v19, 0x3f737871, v15 :: v_dual_fmamk_f32 v46, v9, 0x3f737871, v34
	v_fmamk_f32 v40, v29, 0xbf737871, v18
	v_dual_add_f32 v49, v53, v49 :: v_dual_add_f32 v0, v27, v31
	v_dual_fmamk_f32 v31, v12, 0xbf737871, v10 :: v_dual_add_f32 v2, v2, v4
	v_fmamk_f32 v45, v30, 0x3f737871, v33
	v_dual_fmac_f32 v33, 0xbf737871, v30 :: v_dual_fmac_f32 v34, 0xbf737871, v9
	v_dual_fmac_f32 v10, 0x3f737871, v12 :: v_dual_add_f32 v3, v3, v17
	v_fmac_f32_e32 v40, 0xbf167918, v30
	v_dual_add_f32 v27, v49, v50 :: v_dual_fmac_f32 v18, 0x3f737871, v29
	s_delay_alu instid0(VALU_DEP_4) | instskip(NEXT) | instid1(VALU_DEP_4)
	v_fmac_f32_e32 v33, 0x3f167918, v29
	v_dual_add_f32 v3, v3, v5 :: v_dual_fmac_f32 v46, 0x3f167918, v55
	v_fmamk_f32 v42, v14, 0x3f737871, v26
	v_dual_fmac_f32 v15, 0xbf737871, v19 :: v_dual_add_f32 v0, v0, v41
	v_fmac_f32_e32 v18, 0x3f167918, v30
	s_delay_alu instid0(VALU_DEP_4)
	v_dual_fmac_f32 v33, 0x3e9e377a, v32 :: v_dual_fmac_f32 v46, 0x3e9e377a, v6
	v_fmamk_f32 v43, v24, 0xbf737871, v28
	v_fmac_f32_e32 v28, 0x3f737871, v24
	v_fmac_f32_e32 v26, 0xbf737871, v14
	v_dual_fmamk_f32 v47, v55, 0xbf737871, v38 :: v_dual_add_f32 v4, v0, v35
	v_dual_fmac_f32 v38, 0x3f737871, v55 :: v_dual_add_f32 v7, v27, v52
	s_delay_alu instid0(VALU_DEP_4) | instskip(SKIP_2) | instid1(VALU_DEP_4)
	v_dual_fmac_f32 v28, 0xbf167918, v19 :: v_dual_fmac_f32 v31, 0xbf167918, v14
	v_dual_fmac_f32 v42, 0xbf167918, v12 :: v_dual_fmac_f32 v45, 0xbf167918, v29
	;; [unrolled: 1-line block ×3, first 2 shown]
	v_fmac_f32_e32 v38, 0xbf167918, v9
	v_dual_fmac_f32 v39, 0x3f167918, v24 :: v_dual_fmac_f32 v10, 0x3f167918, v14
	v_dual_fmac_f32 v43, 0x3f167918, v19 :: v_dual_fmac_f32 v26, 0x3f167918, v12
	v_dual_add_f32 v5, v7, v51 :: v_dual_fmac_f32 v40, 0x3e9e377a, v16
	v_dual_fmac_f32 v31, 0x3e9e377a, v8 :: v_dual_fmac_f32 v42, 0x3e9e377a, v25
	v_dual_fmac_f32 v45, 0x3e9e377a, v32 :: v_dual_fmac_f32 v28, 0x3e9e377a, v1
	;; [unrolled: 1-line block ×3, first 2 shown]
	v_dual_mul_f32 v14, 0x3e9e377a, v33 :: v_dual_fmac_f32 v39, 0x3e9e377a, v11
	v_fmac_f32_e32 v26, 0x3e9e377a, v25
	v_dual_fmac_f32 v43, 0x3e9e377a, v1 :: v_dual_fmac_f32 v10, 0x3e9e377a, v8
	v_dual_sub_f32 v1, v3, v2 :: v_dual_fmac_f32 v38, 0x3e9e377a, v13
	v_dual_sub_f32 v0, v4, v5 :: v_dual_add_f32 v3, v3, v2
	v_dual_add_f32 v2, v4, v5 :: v_dual_mul_f32 v29, 0xbf167918, v18
	v_mul_f32_e32 v16, 0x3f4f1bbd, v18
	v_mul_f32_e32 v27, 0xbf737871, v33
	v_fmac_f32_e32 v34, 0x3e9e377a, v6
	v_fmac_f32_e32 v14, 0x3f737871, v28
	v_mul_f32_e32 v6, 0xbf4f1bbd, v40
	v_fmac_f32_e32 v47, 0x3f167918, v9
	v_fmac_f32_e32 v27, 0x3e9e377a, v28
	;; [unrolled: 1-line block ×3, first 2 shown]
	v_dual_fmac_f32 v16, 0x3f167918, v15 :: v_dual_sub_f32 v9, v26, v14
	v_fmac_f32_e32 v6, 0x3f167918, v39
	v_mul_f32_e32 v24, 0xbf167918, v40
	v_dual_fmac_f32 v47, 0x3e9e377a, v13 :: v_dual_sub_f32 v8, v38, v27
	v_mul_f32_e32 v25, 0xbf737871, v45
	v_sub_f32_e32 v11, v10, v16
	s_delay_alu instid0(VALU_DEP_4)
	v_dual_add_f32 v13, v31, v6 :: v_dual_fmac_f32 v24, 0xbf4f1bbd, v39
	v_add_f32_e32 v19, v10, v16
	v_add_f32_e32 v16, v38, v27
	v_dual_mul_f32 v12, 0xbe9e377a, v45 :: v_dual_fmac_f32 v25, 0xbe9e377a, v43
	v_add_f32_e32 v18, v34, v29
	v_add_f32_e32 v17, v26, v14
	v_sub_f32_e32 v10, v34, v29
	s_delay_alu instid0(VALU_DEP_4) | instskip(SKIP_2) | instid1(VALU_DEP_3)
	v_fmac_f32_e32 v12, 0x3f737871, v43
	v_add_f32_e32 v14, v47, v25
	v_dual_sub_f32 v5, v31, v6 :: v_dual_sub_f32 v4, v46, v24
	v_dual_sub_f32 v6, v47, v25 :: v_dual_add_f32 v15, v42, v12
	v_sub_f32_e32 v7, v42, v12
	v_add_f32_e32 v12, v46, v24
	ds_store_2addr_b64 v44, v[2:3], v[18:19] offset1:16
	ds_store_2addr_b64 v44, v[16:17], v[14:15] offset0:32 offset1:48
	ds_store_2addr_b64 v44, v[12:13], v[0:1] offset0:64 offset1:80
	;; [unrolled: 1-line block ×4, first 2 shown]
.LBB0_19:
	s_wait_alu 0xfffe
	s_or_b32 exec_lo, exec_lo, s1
	v_mul_u32_u24_e32 v0, 5, v36
	s_load_b64 s[0:1], s[2:3], 0x0
	global_wb scope:SCOPE_SE
	s_wait_dscnt 0x0
	s_wait_kmcnt 0x0
	s_barrier_signal -1
	s_barrier_wait -1
	v_lshlrev_b32_e32 v8, 3, v0
	global_inv scope:SCOPE_SE
	s_clause 0x2
	global_load_b128 v[0:3], v8, s[8:9] offset:1152
	global_load_b128 v[4:7], v8, s[8:9] offset:1168
	global_load_b64 v[24:25], v8, s[8:9] offset:1184
	ds_load_2addr_b64 v[8:11], v37 offset1:160
	v_add_nc_u32_e32 v26, 0x800, v37
	s_wait_loadcnt_dscnt 0x200
	v_dual_mul_f32 v28, v1, v11 :: v_dual_add_nc_u32 v27, 0x1400, v37
	ds_load_2addr_b64 v[12:15], v26 offset0:64 offset1:224
	ds_load_2addr_b64 v[16:19], v27 offset1:160
	v_mul_f32_e32 v1, v1, v10
	global_wb scope:SCOPE_SE
	s_wait_loadcnt_dscnt 0x0
	s_barrier_signal -1
	s_barrier_wait -1
	global_inv scope:SCOPE_SE
	v_fmac_f32_e32 v28, v0, v10
	v_fma_f32 v10, v0, v11, -v1
	v_dual_mul_f32 v29, v3, v13 :: v_dual_mul_f32 v30, v5, v15
	v_dual_mul_f32 v31, v7, v17 :: v_dual_mul_f32 v32, v25, v19
	v_mul_f32_e32 v3, v3, v12
	s_delay_alu instid0(VALU_DEP_3) | instskip(SKIP_1) | instid1(VALU_DEP_4)
	v_dual_fmac_f32 v29, v2, v12 :: v_dual_fmac_f32 v30, v4, v14
	v_mul_f32_e32 v5, v5, v14
	v_dual_fmac_f32 v31, v6, v16 :: v_dual_fmac_f32 v32, v24, v18
	v_mul_f32_e32 v25, v25, v18
	v_mul_f32_e32 v7, v7, v16
	v_fma_f32 v0, v2, v13, -v3
	v_fma_f32 v1, v4, v15, -v5
	v_sub_f32_e32 v16, v30, v32
	v_fma_f32 v3, v24, v19, -v25
	v_fma_f32 v2, v6, v17, -v7
	v_dual_add_f32 v4, v8, v29 :: v_dual_add_f32 v5, v29, v31
	v_add_f32_e32 v7, v9, v0
	v_dual_sub_f32 v11, v29, v31 :: v_dual_add_f32 v12, v28, v30
	v_dual_add_f32 v13, v30, v32 :: v_dual_sub_f32 v14, v1, v3
	s_delay_alu instid0(VALU_DEP_4)
	v_dual_add_f32 v15, v10, v1 :: v_dual_add_f32 v4, v4, v31
	v_dual_add_f32 v1, v1, v3 :: v_dual_sub_f32 v6, v0, v2
	v_add_f32_e32 v0, v0, v2
	v_fma_f32 v17, -0.5, v5, v8
	v_dual_add_f32 v5, v7, v2 :: v_dual_fmac_f32 v28, -0.5, v13
	v_dual_add_f32 v2, v12, v32 :: v_dual_add_f32 v3, v15, v3
	v_fmac_f32_e32 v10, -0.5, v1
	v_fma_f32 v18, -0.5, v0, v9
	v_fmamk_f32 v8, v6, 0xbf5db3d7, v17
	s_delay_alu instid0(VALU_DEP_4) | instskip(NEXT) | instid1(VALU_DEP_4)
	v_dual_add_f32 v0, v4, v2 :: v_dual_add_f32 v1, v5, v3
	v_fmamk_f32 v7, v16, 0x3f5db3d7, v10
	v_fmac_f32_e32 v10, 0xbf5db3d7, v16
	v_fmamk_f32 v9, v11, 0x3f5db3d7, v18
	s_delay_alu instid0(VALU_DEP_2)
	v_dual_sub_f32 v3, v5, v3 :: v_dual_mul_f32 v12, 0xbf5db3d7, v10
	v_fmac_f32_e32 v17, 0x3f5db3d7, v6
	v_fmamk_f32 v6, v14, 0xbf5db3d7, v28
	v_fmac_f32_e32 v28, 0x3f5db3d7, v14
	v_dual_mul_f32 v14, -0.5, v10 :: v_dual_mul_f32 v13, 0.5, v7
	v_fmac_f32_e32 v18, 0xbf5db3d7, v11
	v_mul_f32_e32 v11, 0xbf5db3d7, v7
	s_delay_alu instid0(VALU_DEP_3) | instskip(SKIP_1) | instid1(VALU_DEP_3)
	v_dual_fmac_f32 v14, 0x3f5db3d7, v28 :: v_dual_fmac_f32 v13, 0x3f5db3d7, v6
	v_sub_f32_e32 v2, v4, v2
	v_fmac_f32_e32 v11, 0.5, v6
	s_delay_alu instid0(VALU_DEP_3) | instskip(NEXT) | instid1(VALU_DEP_4)
	v_add_f32_e32 v7, v18, v14
	v_add_f32_e32 v5, v9, v13
	v_dual_sub_f32 v9, v9, v13 :: v_dual_fmac_f32 v12, -0.5, v28
	s_delay_alu instid0(VALU_DEP_4) | instskip(SKIP_1) | instid1(VALU_DEP_3)
	v_add_f32_e32 v4, v8, v11
	v_dual_sub_f32 v8, v8, v11 :: v_dual_sub_f32 v11, v18, v14
	v_add_f32_e32 v6, v17, v12
	v_sub_f32_e32 v10, v17, v12
	ds_store_2addr_b64 v37, v[0:1], v[4:5] offset1:160
	ds_store_2addr_b64 v26, v[6:7], v[2:3] offset0:64 offset1:224
	ds_store_2addr_b64 v27, v[8:9], v[10:11] offset1:160
	global_wb scope:SCOPE_SE
	s_wait_dscnt 0x0
	s_barrier_signal -1
	s_barrier_wait -1
	global_inv scope:SCOPE_SE
	s_and_saveexec_b32 s2, vcc_lo
	s_cbranch_execz .LBB0_21
; %bb.20:
	v_mul_lo_u32 v2, s1, v22
	v_mul_lo_u32 v3, s0, v23
	v_mad_co_u64_u32 v[0:1], null, s0, v22, 0
	v_mad_co_u64_u32 v[4:5], null, s16, v36, 0
	v_add_nc_u32_e32 v13, 0xa0, v36
	v_lshl_add_u32 v19, v36, 3, 0
	v_add_nc_u32_e32 v18, 0x280, v36
	v_add3_u32 v1, v1, v3, v2
	v_mov_b32_e32 v2, v5
	v_mad_co_u64_u32 v[6:7], null, s16, v13, 0
	s_delay_alu instid0(VALU_DEP_3) | instskip(NEXT) | instid1(VALU_DEP_3)
	v_lshlrev_b64_e32 v[8:9], 3, v[0:1]
	v_mad_co_u64_u32 v[10:11], null, s17, v36, v[2:3]
	v_lshlrev_b64_e32 v[11:12], 3, v[20:21]
	ds_load_2addr_b64 v[0:3], v19 offset1:160
	v_add_co_u32 v8, vcc_lo, s6, v8
	s_wait_alu 0xfffd
	v_add_co_ci_u32_e32 v9, vcc_lo, s7, v9, vcc_lo
	v_mov_b32_e32 v5, v10
	s_delay_alu instid0(VALU_DEP_3) | instskip(SKIP_1) | instid1(VALU_DEP_3)
	v_add_co_u32 v23, vcc_lo, v8, v11
	s_wait_alu 0xfffd
	v_add_co_ci_u32_e32 v24, vcc_lo, v9, v12, vcc_lo
	v_add_nc_u32_e32 v12, 0x140, v36
	v_lshlrev_b64_e32 v[4:5], 3, v[4:5]
	v_mad_co_u64_u32 v[7:8], null, s17, v13, v[7:8]
	v_add_nc_u32_e32 v21, 0x320, v36
	s_delay_alu instid0(VALU_DEP_4) | instskip(NEXT) | instid1(VALU_DEP_4)
	v_mad_co_u64_u32 v[8:9], null, s16, v12, 0
	v_add_co_u32 v4, vcc_lo, v23, v4
	v_add_nc_u32_e32 v13, 0x1e0, v36
	s_wait_alu 0xfffd
	v_add_co_ci_u32_e32 v5, vcc_lo, v24, v5, vcc_lo
	v_mad_co_u64_u32 v[16:17], null, s16, v21, 0
	s_wait_dscnt 0x0
	global_store_b64 v[4:5], v[0:1], off
	v_mov_b32_e32 v0, v9
	v_mad_co_u64_u32 v[10:11], null, s16, v13, 0
	v_lshlrev_b64_e32 v[4:5], 3, v[6:7]
	s_delay_alu instid0(VALU_DEP_2) | instskip(NEXT) | instid1(VALU_DEP_2)
	v_mov_b32_e32 v1, v11
	v_add_co_u32 v14, vcc_lo, v23, v4
	s_wait_alu 0xfffd
	s_delay_alu instid0(VALU_DEP_3) | instskip(NEXT) | instid1(VALU_DEP_3)
	v_add_co_ci_u32_e32 v15, vcc_lo, v24, v5, vcc_lo
	v_mad_co_u64_u32 v[6:7], null, s17, v12, v[0:1]
	v_mad_co_u64_u32 v[0:1], null, s17, v13, v[1:2]
	;; [unrolled: 1-line block ×3, first 2 shown]
	s_delay_alu instid0(VALU_DEP_3) | instskip(NEXT) | instid1(VALU_DEP_3)
	v_dual_mov_b32 v9, v6 :: v_dual_add_nc_u32 v4, 0x800, v19
	v_mov_b32_e32 v11, v0
	ds_load_2addr_b64 v[4:7], v4 offset0:64 offset1:224
	v_mov_b32_e32 v1, v13
	s_delay_alu instid0(VALU_DEP_1) | instskip(SKIP_4) | instid1(VALU_DEP_4)
	v_mad_co_u64_u32 v[0:1], null, s17, v18, v[1:2]
	v_mov_b32_e32 v1, v17
	v_lshlrev_b64_e32 v[17:18], 3, v[8:9]
	v_add_nc_u32_e32 v8, 0x1400, v19
	v_lshlrev_b64_e32 v[19:20], 3, v[10:11]
	v_mad_co_u64_u32 v[21:22], null, s17, v21, v[1:2]
	v_mov_b32_e32 v13, v0
	ds_load_2addr_b64 v[8:11], v8 offset1:160
	v_add_co_u32 v0, vcc_lo, v23, v17
	s_wait_alu 0xfffd
	v_add_co_ci_u32_e32 v1, vcc_lo, v24, v18, vcc_lo
	v_mov_b32_e32 v17, v21
	v_lshlrev_b64_e32 v[12:13], 3, v[12:13]
	v_add_co_u32 v18, vcc_lo, v23, v19
	s_wait_alu 0xfffd
	v_add_co_ci_u32_e32 v19, vcc_lo, v24, v20, vcc_lo
	v_lshlrev_b64_e32 v[16:17], 3, v[16:17]
	s_delay_alu instid0(VALU_DEP_4) | instskip(SKIP_2) | instid1(VALU_DEP_3)
	v_add_co_u32 v12, vcc_lo, v23, v12
	s_wait_alu 0xfffd
	v_add_co_ci_u32_e32 v13, vcc_lo, v24, v13, vcc_lo
	v_add_co_u32 v16, vcc_lo, v23, v16
	s_wait_alu 0xfffd
	v_add_co_ci_u32_e32 v17, vcc_lo, v24, v17, vcc_lo
	global_store_b64 v[14:15], v[2:3], off
	s_wait_dscnt 0x1
	s_clause 0x1
	global_store_b64 v[0:1], v[4:5], off
	global_store_b64 v[18:19], v[6:7], off
	s_wait_dscnt 0x0
	s_clause 0x1
	global_store_b64 v[12:13], v[8:9], off
	global_store_b64 v[16:17], v[10:11], off
.LBB0_21:
	s_nop 0
	s_sendmsg sendmsg(MSG_DEALLOC_VGPRS)
	s_endpgm
	.section	.rodata,"a",@progbits
	.p2align	6, 0x0
	.amdhsa_kernel fft_rtc_back_len960_factors_16_10_6_wgs_160_tpt_160_sp_op_CI_CI_sbrr_dirReg
		.amdhsa_group_segment_fixed_size 0
		.amdhsa_private_segment_fixed_size 0
		.amdhsa_kernarg_size 104
		.amdhsa_user_sgpr_count 2
		.amdhsa_user_sgpr_dispatch_ptr 0
		.amdhsa_user_sgpr_queue_ptr 0
		.amdhsa_user_sgpr_kernarg_segment_ptr 1
		.amdhsa_user_sgpr_dispatch_id 0
		.amdhsa_user_sgpr_private_segment_size 0
		.amdhsa_wavefront_size32 1
		.amdhsa_uses_dynamic_stack 0
		.amdhsa_enable_private_segment 0
		.amdhsa_system_sgpr_workgroup_id_x 1
		.amdhsa_system_sgpr_workgroup_id_y 0
		.amdhsa_system_sgpr_workgroup_id_z 0
		.amdhsa_system_sgpr_workgroup_info 0
		.amdhsa_system_vgpr_workitem_id 0
		.amdhsa_next_free_vgpr 59
		.amdhsa_next_free_sgpr 43
		.amdhsa_reserve_vcc 1
		.amdhsa_float_round_mode_32 0
		.amdhsa_float_round_mode_16_64 0
		.amdhsa_float_denorm_mode_32 3
		.amdhsa_float_denorm_mode_16_64 3
		.amdhsa_fp16_overflow 0
		.amdhsa_workgroup_processor_mode 1
		.amdhsa_memory_ordered 1
		.amdhsa_forward_progress 0
		.amdhsa_round_robin_scheduling 0
		.amdhsa_exception_fp_ieee_invalid_op 0
		.amdhsa_exception_fp_denorm_src 0
		.amdhsa_exception_fp_ieee_div_zero 0
		.amdhsa_exception_fp_ieee_overflow 0
		.amdhsa_exception_fp_ieee_underflow 0
		.amdhsa_exception_fp_ieee_inexact 0
		.amdhsa_exception_int_div_zero 0
	.end_amdhsa_kernel
	.text
.Lfunc_end0:
	.size	fft_rtc_back_len960_factors_16_10_6_wgs_160_tpt_160_sp_op_CI_CI_sbrr_dirReg, .Lfunc_end0-fft_rtc_back_len960_factors_16_10_6_wgs_160_tpt_160_sp_op_CI_CI_sbrr_dirReg
                                        ; -- End function
	.section	.AMDGPU.csdata,"",@progbits
; Kernel info:
; codeLenInByte = 5812
; NumSgprs: 45
; NumVgprs: 59
; ScratchSize: 0
; MemoryBound: 0
; FloatMode: 240
; IeeeMode: 1
; LDSByteSize: 0 bytes/workgroup (compile time only)
; SGPRBlocks: 5
; VGPRBlocks: 7
; NumSGPRsForWavesPerEU: 45
; NumVGPRsForWavesPerEU: 59
; Occupancy: 15
; WaveLimiterHint : 1
; COMPUTE_PGM_RSRC2:SCRATCH_EN: 0
; COMPUTE_PGM_RSRC2:USER_SGPR: 2
; COMPUTE_PGM_RSRC2:TRAP_HANDLER: 0
; COMPUTE_PGM_RSRC2:TGID_X_EN: 1
; COMPUTE_PGM_RSRC2:TGID_Y_EN: 0
; COMPUTE_PGM_RSRC2:TGID_Z_EN: 0
; COMPUTE_PGM_RSRC2:TIDIG_COMP_CNT: 0
	.text
	.p2alignl 7, 3214868480
	.fill 96, 4, 3214868480
	.type	__hip_cuid_fb8fee05023298f3,@object ; @__hip_cuid_fb8fee05023298f3
	.section	.bss,"aw",@nobits
	.globl	__hip_cuid_fb8fee05023298f3
__hip_cuid_fb8fee05023298f3:
	.byte	0                               ; 0x0
	.size	__hip_cuid_fb8fee05023298f3, 1

	.ident	"AMD clang version 19.0.0git (https://github.com/RadeonOpenCompute/llvm-project roc-6.4.0 25133 c7fe45cf4b819c5991fe208aaa96edf142730f1d)"
	.section	".note.GNU-stack","",@progbits
	.addrsig
	.addrsig_sym __hip_cuid_fb8fee05023298f3
	.amdgpu_metadata
---
amdhsa.kernels:
  - .args:
      - .actual_access:  read_only
        .address_space:  global
        .offset:         0
        .size:           8
        .value_kind:     global_buffer
      - .offset:         8
        .size:           8
        .value_kind:     by_value
      - .actual_access:  read_only
        .address_space:  global
        .offset:         16
        .size:           8
        .value_kind:     global_buffer
      - .actual_access:  read_only
        .address_space:  global
        .offset:         24
        .size:           8
        .value_kind:     global_buffer
      - .actual_access:  read_only
        .address_space:  global
        .offset:         32
        .size:           8
        .value_kind:     global_buffer
      - .offset:         40
        .size:           8
        .value_kind:     by_value
      - .actual_access:  read_only
        .address_space:  global
        .offset:         48
        .size:           8
        .value_kind:     global_buffer
      - .actual_access:  read_only
        .address_space:  global
        .offset:         56
        .size:           8
        .value_kind:     global_buffer
      - .offset:         64
        .size:           4
        .value_kind:     by_value
      - .actual_access:  read_only
        .address_space:  global
        .offset:         72
        .size:           8
        .value_kind:     global_buffer
      - .actual_access:  read_only
        .address_space:  global
        .offset:         80
        .size:           8
        .value_kind:     global_buffer
      - .actual_access:  read_only
        .address_space:  global
        .offset:         88
        .size:           8
        .value_kind:     global_buffer
      - .actual_access:  write_only
        .address_space:  global
        .offset:         96
        .size:           8
        .value_kind:     global_buffer
    .group_segment_fixed_size: 0
    .kernarg_segment_align: 8
    .kernarg_segment_size: 104
    .language:       OpenCL C
    .language_version:
      - 2
      - 0
    .max_flat_workgroup_size: 160
    .name:           fft_rtc_back_len960_factors_16_10_6_wgs_160_tpt_160_sp_op_CI_CI_sbrr_dirReg
    .private_segment_fixed_size: 0
    .sgpr_count:     45
    .sgpr_spill_count: 0
    .symbol:         fft_rtc_back_len960_factors_16_10_6_wgs_160_tpt_160_sp_op_CI_CI_sbrr_dirReg.kd
    .uniform_work_group_size: 1
    .uses_dynamic_stack: false
    .vgpr_count:     59
    .vgpr_spill_count: 0
    .wavefront_size: 32
    .workgroup_processor_mode: 1
amdhsa.target:   amdgcn-amd-amdhsa--gfx1201
amdhsa.version:
  - 1
  - 2
...

	.end_amdgpu_metadata
